;; amdgpu-corpus repo=ROCm/rocFFT kind=compiled arch=gfx906 opt=O3
	.text
	.amdgcn_target "amdgcn-amd-amdhsa--gfx906"
	.amdhsa_code_object_version 6
	.protected	fft_rtc_back_len224_factors_8_7_4_wgs_504_tpt_56_sp_op_CI_CI_sbcc_twdbase6_3step_dirReg_intrinsicReadWrite ; -- Begin function fft_rtc_back_len224_factors_8_7_4_wgs_504_tpt_56_sp_op_CI_CI_sbcc_twdbase6_3step_dirReg_intrinsicReadWrite
	.globl	fft_rtc_back_len224_factors_8_7_4_wgs_504_tpt_56_sp_op_CI_CI_sbcc_twdbase6_3step_dirReg_intrinsicReadWrite
	.p2align	8
	.type	fft_rtc_back_len224_factors_8_7_4_wgs_504_tpt_56_sp_op_CI_CI_sbcc_twdbase6_3step_dirReg_intrinsicReadWrite,@function
fft_rtc_back_len224_factors_8_7_4_wgs_504_tpt_56_sp_op_CI_CI_sbcc_twdbase6_3step_dirReg_intrinsicReadWrite: ; @fft_rtc_back_len224_factors_8_7_4_wgs_504_tpt_56_sp_op_CI_CI_sbcc_twdbase6_3step_dirReg_intrinsicReadWrite
; %bb.0:
	s_load_dwordx8 s[8:15], s[4:5], 0x8
	s_load_dwordx2 s[2:3], s[4:5], 0x28
	s_movk_i32 s0, 0xc0
	v_cmp_gt_u32_e32 vcc, s0, v0
	s_and_saveexec_b64 s[0:1], vcc
	s_cbranch_execz .LBB0_2
; %bb.1:
	v_lshlrev_b32_e32 v3, 3, v0
	s_waitcnt lgkmcnt(0)
	global_load_dwordx2 v[1:2], v3, s[8:9]
	v_add_u32_e32 v3, 0, v3
	s_waitcnt vmcnt(0)
	ds_write_b64 v3, v[1:2] offset:16128
.LBB0_2:
	s_or_b64 exec, exec, s[0:1]
	s_waitcnt lgkmcnt(0)
	s_load_dwordx2 s[8:9], s[12:13], 0x8
	s_mov_b32 s7, 0
	s_mov_b64 s[30:31], 0
	s_waitcnt lgkmcnt(0)
	s_add_u32 s0, s8, -1
	s_addc_u32 s1, s9, -1
	s_add_u32 s16, 0, 0x71c4fc00
	s_addc_u32 s17, 0, 0x7c
	s_mul_hi_u32 s19, s16, -9
	s_add_i32 s17, s17, 0x1c71c6a0
	s_sub_i32 s19, s19, s16
	s_mul_i32 s22, s17, -9
	s_mul_i32 s18, s16, -9
	s_add_i32 s19, s19, s22
	s_mul_hi_u32 s20, s17, s18
	s_mul_i32 s21, s17, s18
	s_mul_i32 s23, s16, s19
	s_mul_hi_u32 s18, s16, s18
	s_mul_hi_u32 s22, s16, s19
	s_add_u32 s18, s18, s23
	s_addc_u32 s22, 0, s22
	s_add_u32 s18, s18, s21
	s_mul_hi_u32 s23, s17, s19
	s_addc_u32 s18, s22, s20
	s_addc_u32 s20, s23, 0
	s_mul_i32 s19, s17, s19
	s_add_u32 s18, s18, s19
	v_mov_b32_e32 v1, s18
	s_addc_u32 s19, 0, s20
	v_add_co_u32_e32 v1, vcc, s16, v1
	s_cmp_lg_u64 vcc, 0
	s_addc_u32 s16, s17, s19
	v_readfirstlane_b32 s19, v1
	s_mul_i32 s18, s0, s16
	s_mul_hi_u32 s20, s0, s19
	s_mul_hi_u32 s17, s0, s16
	s_add_u32 s18, s20, s18
	s_addc_u32 s17, 0, s17
	s_mul_hi_u32 s21, s1, s19
	s_mul_i32 s19, s1, s19
	s_add_u32 s18, s18, s19
	s_mul_hi_u32 s20, s1, s16
	s_addc_u32 s17, s17, s21
	s_addc_u32 s18, s20, 0
	s_mul_i32 s16, s1, s16
	s_add_u32 s16, s17, s16
	s_addc_u32 s17, 0, s18
	s_add_u32 s18, s16, 1
	s_addc_u32 s19, s17, 0
	s_add_u32 s20, s16, 2
	s_mul_i32 s22, s17, 9
	s_mul_hi_u32 s23, s16, 9
	s_addc_u32 s21, s17, 0
	s_add_i32 s23, s23, s22
	s_mul_i32 s22, s16, 9
	v_mov_b32_e32 v1, s22
	v_sub_co_u32_e32 v1, vcc, s0, v1
	s_cmp_lg_u64 vcc, 0
	s_subb_u32 s0, s1, s23
	v_subrev_co_u32_e32 v2, vcc, 9, v1
	s_cmp_lg_u64 vcc, 0
	s_subb_u32 s1, s0, 0
	v_readfirstlane_b32 s22, v2
	s_cmp_gt_u32 s22, 8
	s_cselect_b32 s22, -1, 0
	s_cmp_eq_u32 s1, 0
	s_cselect_b32 s1, s22, -1
	s_cmp_lg_u32 s1, 0
	s_cselect_b32 s1, s20, s18
	s_cselect_b32 s18, s21, s19
	v_readfirstlane_b32 s19, v1
	s_cmp_gt_u32 s19, 8
	s_cselect_b32 s19, -1, 0
	s_cmp_eq_u32 s0, 0
	s_cselect_b32 s0, s19, -1
	s_cmp_lg_u32 s0, 0
	s_cselect_b32 s1, s1, s16
	s_cselect_b32 s0, s18, s17
	s_add_u32 s34, s1, 1
	s_addc_u32 s35, s0, 0
	v_mov_b32_e32 v1, s34
	v_mov_b32_e32 v2, s35
	v_cmp_lt_u64_e32 vcc, s[6:7], v[1:2]
	s_cbranch_vccnz .LBB0_4
; %bb.3:
	v_cvt_f32_u32_e32 v1, s34
	s_sub_i32 s0, 0, s34
	s_mov_b32 s31, s7
	v_rcp_iflag_f32_e32 v1, v1
	v_mul_f32_e32 v1, 0x4f7ffffe, v1
	v_cvt_u32_f32_e32 v1, v1
	v_readfirstlane_b32 s1, v1
	s_mul_i32 s0, s0, s1
	s_mul_hi_u32 s0, s1, s0
	s_add_i32 s1, s1, s0
	s_mul_hi_u32 s0, s6, s1
	s_mul_i32 s16, s0, s34
	s_sub_i32 s16, s6, s16
	s_add_i32 s1, s0, 1
	s_sub_i32 s17, s16, s34
	s_cmp_ge_u32 s16, s34
	s_cselect_b32 s0, s1, s0
	s_cselect_b32 s16, s17, s16
	s_add_i32 s1, s0, 1
	s_cmp_ge_u32 s16, s34
	s_cselect_b32 s30, s1, s0
.LBB0_4:
	s_mul_i32 s0, s30, s35
	s_mul_hi_u32 s1, s30, s34
	s_add_i32 s1, s1, s0
	s_mul_i32 s0, s30, s34
	s_load_dwordx4 s[20:23], s[4:5], 0x60
	s_load_dwordx2 s[28:29], s[4:5], 0x0
	s_load_dwordx4 s[24:27], s[14:15], 0x0
	s_load_dwordx4 s[16:19], s[2:3], 0x0
	s_sub_u32 s33, s6, s0
	s_subb_u32 s0, 0, s1
	s_mul_i32 s0, s0, 9
	s_waitcnt lgkmcnt(0)
	s_mul_hi_u32 s25, s33, 9
	s_add_i32 s25, s25, s0
	s_mul_i32 s33, s33, 9
	s_mul_i32 s0, s26, s25
	s_mul_hi_u32 s1, s26, s33
	s_add_i32 s0, s1, s0
	s_mul_i32 s1, s27, s33
	s_add_i32 s46, s0, s1
	s_mul_i32 s0, s18, s25
	s_mul_hi_u32 s1, s18, s33
	s_add_i32 s0, s1, s0
	s_mul_i32 s1, s19, s33
	s_add_i32 s19, s0, s1
	v_cmp_lt_u64_e64 s[0:1], s[10:11], 3
	s_mul_i32 s27, s26, s33
	s_mul_i32 s17, s18, s33
	s_and_b64 vcc, exec, s[0:1]
	s_cbranch_vccnz .LBB0_14
; %bb.5:
	s_add_u32 s4, s2, 16
	s_addc_u32 s5, s3, 0
	s_add_u32 s36, s14, 16
	s_addc_u32 s37, s15, 0
	s_add_u32 s12, s12, 16
	v_mov_b32_e32 v1, s10
	s_addc_u32 s13, s13, 0
	s_mov_b64 s[38:39], 2
	s_mov_b32 s40, 0
	v_mov_b32_e32 v2, s11
.LBB0_6:                                ; =>This Inner Loop Header: Depth=1
	s_load_dwordx2 s[42:43], s[12:13], 0x0
	s_waitcnt lgkmcnt(0)
	s_or_b64 s[0:1], s[30:31], s[42:43]
	s_mov_b32 s41, s1
	s_cmp_lg_u64 s[40:41], 0
	s_cbranch_scc0 .LBB0_11
; %bb.7:                                ;   in Loop: Header=BB0_6 Depth=1
	v_cvt_f32_u32_e32 v3, s42
	v_cvt_f32_u32_e32 v4, s43
	s_sub_u32 s0, 0, s42
	s_subb_u32 s1, 0, s43
	v_mac_f32_e32 v3, 0x4f800000, v4
	v_rcp_f32_e32 v3, v3
	v_mul_f32_e32 v3, 0x5f7ffffc, v3
	v_mul_f32_e32 v4, 0x2f800000, v3
	v_trunc_f32_e32 v4, v4
	v_mac_f32_e32 v3, 0xcf800000, v4
	v_cvt_u32_f32_e32 v4, v4
	v_cvt_u32_f32_e32 v3, v3
	v_readfirstlane_b32 s41, v4
	v_readfirstlane_b32 s44, v3
	s_mul_i32 s45, s0, s41
	s_mul_hi_u32 s48, s0, s44
	s_mul_i32 s47, s1, s44
	s_add_i32 s45, s48, s45
	s_mul_i32 s49, s0, s44
	s_add_i32 s45, s45, s47
	s_mul_hi_u32 s47, s44, s45
	s_mul_i32 s48, s44, s45
	s_mul_hi_u32 s44, s44, s49
	s_add_u32 s44, s44, s48
	s_addc_u32 s47, 0, s47
	s_mul_hi_u32 s50, s41, s49
	s_mul_i32 s49, s41, s49
	s_add_u32 s44, s44, s49
	s_mul_hi_u32 s48, s41, s45
	s_addc_u32 s44, s47, s50
	s_addc_u32 s47, s48, 0
	s_mul_i32 s45, s41, s45
	s_add_u32 s44, s44, s45
	s_addc_u32 s45, 0, s47
	v_add_co_u32_e32 v3, vcc, s44, v3
	s_cmp_lg_u64 vcc, 0
	s_addc_u32 s41, s41, s45
	v_readfirstlane_b32 s45, v3
	s_mul_i32 s44, s0, s41
	s_mul_hi_u32 s47, s0, s45
	s_add_i32 s44, s47, s44
	s_mul_i32 s1, s1, s45
	s_add_i32 s44, s44, s1
	s_mul_i32 s0, s0, s45
	s_mul_hi_u32 s47, s41, s0
	s_mul_i32 s48, s41, s0
	s_mul_i32 s50, s45, s44
	s_mul_hi_u32 s0, s45, s0
	s_mul_hi_u32 s49, s45, s44
	s_add_u32 s0, s0, s50
	s_addc_u32 s45, 0, s49
	s_add_u32 s0, s0, s48
	s_mul_hi_u32 s1, s41, s44
	s_addc_u32 s0, s45, s47
	s_addc_u32 s1, s1, 0
	s_mul_i32 s44, s41, s44
	s_add_u32 s0, s0, s44
	s_addc_u32 s1, 0, s1
	v_add_co_u32_e32 v3, vcc, s0, v3
	s_cmp_lg_u64 vcc, 0
	s_addc_u32 s0, s41, s1
	v_readfirstlane_b32 s44, v3
	s_mul_i32 s41, s30, s0
	s_mul_hi_u32 s45, s30, s44
	s_mul_hi_u32 s1, s30, s0
	s_add_u32 s41, s45, s41
	s_addc_u32 s1, 0, s1
	s_mul_hi_u32 s47, s31, s44
	s_mul_i32 s44, s31, s44
	s_add_u32 s41, s41, s44
	s_mul_hi_u32 s45, s31, s0
	s_addc_u32 s1, s1, s47
	s_addc_u32 s41, s45, 0
	s_mul_i32 s0, s31, s0
	s_add_u32 s44, s1, s0
	s_addc_u32 s41, 0, s41
	s_mul_i32 s0, s42, s41
	s_mul_hi_u32 s1, s42, s44
	s_add_i32 s0, s1, s0
	s_mul_i32 s1, s43, s44
	s_add_i32 s45, s0, s1
	s_mul_i32 s1, s42, s44
	v_mov_b32_e32 v3, s1
	s_sub_i32 s0, s31, s45
	v_sub_co_u32_e32 v3, vcc, s30, v3
	s_cmp_lg_u64 vcc, 0
	s_subb_u32 s47, s0, s43
	v_subrev_co_u32_e64 v4, s[0:1], s42, v3
	s_cmp_lg_u64 s[0:1], 0
	s_subb_u32 s0, s47, 0
	s_cmp_ge_u32 s0, s43
	v_readfirstlane_b32 s47, v4
	s_cselect_b32 s1, -1, 0
	s_cmp_ge_u32 s47, s42
	s_cselect_b32 s47, -1, 0
	s_cmp_eq_u32 s0, s43
	s_cselect_b32 s0, s47, s1
	s_add_u32 s1, s44, 1
	s_addc_u32 s47, s41, 0
	s_add_u32 s48, s44, 2
	s_addc_u32 s49, s41, 0
	s_cmp_lg_u32 s0, 0
	s_cselect_b32 s0, s48, s1
	s_cselect_b32 s1, s49, s47
	s_cmp_lg_u64 vcc, 0
	s_subb_u32 s45, s31, s45
	s_cmp_ge_u32 s45, s43
	v_readfirstlane_b32 s48, v3
	s_cselect_b32 s47, -1, 0
	s_cmp_ge_u32 s48, s42
	s_cselect_b32 s48, -1, 0
	s_cmp_eq_u32 s45, s43
	s_cselect_b32 s45, s48, s47
	s_cmp_lg_u32 s45, 0
	s_cselect_b32 s1, s1, s41
	s_cselect_b32 s0, s0, s44
	s_cbranch_execnz .LBB0_9
.LBB0_8:                                ;   in Loop: Header=BB0_6 Depth=1
	v_cvt_f32_u32_e32 v3, s42
	s_sub_i32 s0, 0, s42
	v_rcp_iflag_f32_e32 v3, v3
	v_mul_f32_e32 v3, 0x4f7ffffe, v3
	v_cvt_u32_f32_e32 v3, v3
	v_readfirstlane_b32 s1, v3
	s_mul_i32 s0, s0, s1
	s_mul_hi_u32 s0, s1, s0
	s_add_i32 s1, s1, s0
	s_mul_hi_u32 s0, s30, s1
	s_mul_i32 s41, s0, s42
	s_sub_i32 s41, s30, s41
	s_add_i32 s1, s0, 1
	s_sub_i32 s44, s41, s42
	s_cmp_ge_u32 s41, s42
	s_cselect_b32 s0, s1, s0
	s_cselect_b32 s41, s44, s41
	s_add_i32 s1, s0, 1
	s_cmp_ge_u32 s41, s42
	s_cselect_b32 s0, s1, s0
	s_mov_b32 s1, s40
.LBB0_9:                                ;   in Loop: Header=BB0_6 Depth=1
	s_mul_i32 s35, s42, s35
	s_mul_hi_u32 s41, s42, s34
	s_add_i32 s35, s41, s35
	s_mul_i32 s41, s43, s34
	s_add_i32 s35, s35, s41
	s_mul_i32 s41, s0, s43
	s_mul_hi_u32 s43, s0, s42
	s_load_dwordx2 s[44:45], s[36:37], 0x0
	s_add_i32 s41, s43, s41
	s_mul_i32 s43, s1, s42
	s_mul_i32 s34, s42, s34
	s_add_i32 s41, s41, s43
	s_mul_i32 s42, s0, s42
	s_sub_u32 s42, s30, s42
	s_subb_u32 s41, s31, s41
	s_waitcnt lgkmcnt(0)
	s_mul_i32 s30, s44, s41
	s_mul_hi_u32 s31, s44, s42
	s_add_i32 s43, s31, s30
	s_load_dwordx2 s[30:31], s[4:5], 0x0
	s_mul_i32 s45, s45, s42
	s_add_i32 s43, s43, s45
	s_mul_i32 s44, s44, s42
	s_add_u32 s27, s44, s27
	s_addc_u32 s46, s43, s46
	s_waitcnt lgkmcnt(0)
	s_mul_i32 s41, s30, s41
	s_mul_hi_u32 s43, s30, s42
	s_add_i32 s41, s43, s41
	s_mul_i32 s31, s31, s42
	s_add_i32 s41, s41, s31
	s_mul_i32 s30, s30, s42
	s_add_u32 s17, s30, s17
	s_addc_u32 s19, s41, s19
	s_add_u32 s38, s38, 1
	s_addc_u32 s39, s39, 0
	;; [unrolled: 2-line block ×4, first 2 shown]
	v_cmp_ge_u64_e32 vcc, s[38:39], v[1:2]
	s_add_u32 s12, s12, 8
	s_addc_u32 s13, s13, 0
	s_cbranch_vccnz .LBB0_12
; %bb.10:                               ;   in Loop: Header=BB0_6 Depth=1
	s_mov_b64 s[30:31], s[0:1]
	s_branch .LBB0_6
.LBB0_11:                               ;   in Loop: Header=BB0_6 Depth=1
                                        ; implicit-def: $sgpr0_sgpr1
	s_branch .LBB0_8
.LBB0_12:
	v_mov_b32_e32 v1, s34
	v_mov_b32_e32 v2, s35
	v_cmp_lt_u64_e32 vcc, s[6:7], v[1:2]
	s_mov_b64 s[30:31], 0
	s_cbranch_vccnz .LBB0_14
; %bb.13:
	v_cvt_f32_u32_e32 v1, s34
	s_sub_i32 s0, 0, s34
	v_rcp_iflag_f32_e32 v1, v1
	v_mul_f32_e32 v1, 0x4f7ffffe, v1
	v_cvt_u32_f32_e32 v1, v1
	v_readfirstlane_b32 s1, v1
	s_mul_i32 s0, s0, s1
	s_mul_hi_u32 s0, s1, s0
	s_add_i32 s1, s1, s0
	s_mul_hi_u32 s0, s6, s1
	s_mul_i32 s4, s0, s34
	s_sub_i32 s4, s6, s4
	s_add_i32 s1, s0, 1
	s_sub_i32 s5, s4, s34
	s_cmp_ge_u32 s4, s34
	s_cselect_b32 s0, s1, s0
	s_cselect_b32 s4, s5, s4
	s_add_i32 s1, s0, 1
	s_cmp_ge_u32 s4, s34
	s_cselect_b32 s30, s1, s0
.LBB0_14:
	s_lshl_b64 s[0:1], s[10:11], 3
	s_add_u32 s4, s14, s0
	s_addc_u32 s5, s15, s1
	s_load_dword s4, s[4:5], 0x0
	s_mov_b32 s6, 0x1c71c71d
	v_mul_hi_u32 v19, v0, s6
	v_mov_b32_e32 v2, s25
	v_mov_b32_e32 v3, s8
	s_waitcnt lgkmcnt(0)
	s_mul_i32 s4, s4, s30
	s_add_i32 s10, s4, s27
	v_mul_u32_u24_e32 v1, 9, v19
	s_add_u32 s6, s2, s0
	v_sub_u32_e32 v18, v0, v1
	s_addc_u32 s7, s3, s1
	v_add_co_u32_e32 v1, vcc, s33, v18
	s_add_u32 s0, s33, 9
	v_addc_co_u32_e32 v2, vcc, 0, v2, vcc
	s_addc_u32 s1, s25, 0
	v_mov_b32_e32 v4, s9
	v_cmp_le_u64_e32 vcc, s[0:1], v[3:4]
	s_movk_i32 s0, 0xfb
	v_cmp_lt_u32_e64 s[4:5], s0, v0
	s_movk_i32 s0, 0xfc
	v_cmp_gt_u32_e64 s[2:3], s0, v0
	v_cmp_gt_u64_e64 s[0:1], s[8:9], v[1:2]
	v_mul_lo_u32 v14, s26, v18
	v_mul_lo_u32 v3, s24, v19
	v_cndmask_b32_e64 v4, 0, 1, s[2:3]
	v_cndmask_b32_e64 v2, 0, 1, s[0:1]
	s_or_b64 s[4:5], s[4:5], vcc
	v_cndmask_b32_e64 v2, v2, v4, s[4:5]
	v_and_b32_e32 v2, 1, v2
	v_add_lshl_u32 v3, v14, v3, 3
	v_cmp_eq_u32_e64 s[4:5], 1, v2
	v_add_u32_e32 v2, 28, v19
	v_cndmask_b32_e64 v15, -1, v3, s[4:5]
	v_mul_lo_u32 v2, s24, v2
	v_add_u32_e32 v3, 56, v19
	v_mul_lo_u32 v3, s24, v3
	v_add_u32_e32 v4, 0x70, v19
	v_add_lshl_u32 v2, v14, v2, 3
	v_cndmask_b32_e64 v16, -1, v2, s[4:5]
	v_add_lshl_u32 v2, v14, v3, 3
	v_add_u32_e32 v3, 0x54, v19
	v_mul_lo_u32 v3, s24, v3
	v_mul_lo_u32 v4, s24, v4
	v_cndmask_b32_e64 v17, -1, v2, s[4:5]
	s_lshl_b32 s12, s10, 3
	v_add_lshl_u32 v2, v14, v3, 3
	v_add_u32_e32 v3, 0x8c, v19
	v_cndmask_b32_e64 v20, -1, v2, s[4:5]
	v_add_lshl_u32 v2, v14, v4, 3
	v_mul_lo_u32 v3, s24, v3
	v_add_u32_e32 v4, 0xa8, v19
	v_mul_lo_u32 v4, s24, v4
	v_cndmask_b32_e64 v8, -1, v2, s[4:5]
	v_add_lshl_u32 v2, v14, v3, 3
	s_mov_b32 s11, 0x20000
	s_mov_b32 s10, -2
	s_mov_b32 s8, s20
	s_mov_b32 s9, s21
	v_cndmask_b32_e64 v9, -1, v2, s[4:5]
	v_add_lshl_u32 v2, v14, v4, 3
	v_cndmask_b32_e64 v10, -1, v2, s[4:5]
	buffer_load_dwordx2 v[2:3], v8, s[8:11], s12 offen
	buffer_load_dwordx2 v[4:5], v9, s[8:11], s12 offen
	;; [unrolled: 1-line block ×3, first 2 shown]
	v_add_u32_e32 v8, 0xc4, v19
	v_mul_lo_u32 v21, s24, v8
	buffer_load_dwordx2 v[8:9], v15, s[8:11], s12 offen
	buffer_load_dwordx2 v[10:11], v16, s[8:11], s12 offen
	;; [unrolled: 1-line block ×3, first 2 shown]
	v_add_lshl_u32 v16, v14, v21, 3
	v_cndmask_b32_e64 v16, -1, v16, s[4:5]
	buffer_load_dwordx2 v[14:15], v20, s[8:11], s12 offen
	s_waitcnt vmcnt(3)
	v_sub_f32_e32 v21, v9, v3
	buffer_load_dwordx2 v[16:17], v16, s[8:11], s12 offen
	v_sub_f32_e32 v20, v8, v2
	s_waitcnt vmcnt(2)
	v_sub_f32_e32 v6, v12, v6
	v_sub_f32_e32 v2, v13, v7
	v_sub_f32_e32 v4, v10, v4
	v_sub_f32_e32 v5, v11, v5
	v_fma_f32 v3, v8, 2.0, -v20
	v_fma_f32 v8, v9, 2.0, -v21
	v_fma_f32 v9, v12, 2.0, -v6
	v_fma_f32 v12, v13, 2.0, -v2
	v_fma_f32 v10, v10, 2.0, -v4
	v_fma_f32 v11, v11, 2.0, -v5
	v_sub_f32_e32 v22, v8, v12
	v_sub_f32_e32 v24, v21, v6
	s_waitcnt vmcnt(0)
	v_sub_f32_e32 v7, v14, v16
	v_sub_f32_e32 v16, v15, v17
	v_fma_f32 v13, v14, 2.0, -v7
	v_fma_f32 v14, v15, 2.0, -v16
	v_sub_f32_e32 v17, v3, v9
	v_sub_f32_e32 v23, v10, v13
	;; [unrolled: 1-line block ×3, first 2 shown]
	v_add_f32_e32 v15, v20, v2
	v_fma_f32 v2, v3, 2.0, -v17
	v_fma_f32 v3, v8, 2.0, -v22
	;; [unrolled: 1-line block ×5, first 2 shown]
	v_sub_f32_e32 v21, v5, v7
	v_sub_f32_e32 v13, v3, v9
	v_fma_f32 v6, v20, 2.0, -v15
	v_add_f32_e32 v20, v4, v16
	v_fma_f32 v5, v5, 2.0, -v21
	v_mov_b32_e32 v9, v10
	v_sub_f32_e32 v12, v2, v8
	v_fma_f32 v4, v4, 2.0, -v20
	v_mov_b32_e32 v8, v6
	v_fmac_f32_e32 v9, 0xbf3504f3, v5
	v_fmac_f32_e32 v8, 0xbf3504f3, v4
	;; [unrolled: 1-line block ×4, first 2 shown]
	v_fma_f32 v5, v10, 2.0, -v9
	v_add_f32_e32 v10, v17, v14
	v_fma_f32 v4, v6, 2.0, -v8
	v_fma_f32 v6, v17, 2.0, -v10
	v_mov_b32_e32 v16, v15
	v_mov_b32_e32 v17, v24
	v_fmac_f32_e32 v16, 0x3f3504f3, v20
	v_fmac_f32_e32 v17, 0x3f3504f3, v21
	v_sub_f32_e32 v11, v22, v23
	v_fmac_f32_e32 v16, 0x3f3504f3, v21
	v_fmac_f32_e32 v17, 0xbf3504f3, v20
	v_fma_f32 v2, v2, 2.0, -v12
	v_fma_f32 v3, v3, 2.0, -v13
	;; [unrolled: 1-line block ×5, first 2 shown]
	v_lshlrev_b32_e32 v20, 3, v18
	s_and_saveexec_b64 s[4:5], s[2:3]
	s_cbranch_execz .LBB0_16
; %bb.15:
	v_mul_u32_u24_e32 v21, 0x240, v19
	v_add3_u32 v21, 0, v21, v20
	ds_write2_b64 v21, v[2:3], v[4:5] offset1:9
	ds_write2_b64 v21, v[6:7], v[14:15] offset0:18 offset1:27
	ds_write2_b64 v21, v[12:13], v[8:9] offset0:36 offset1:45
	;; [unrolled: 1-line block ×3, first 2 shown]
.LBB0_16:
	s_or_b64 exec, exec, s[4:5]
	s_load_dwordx2 s[4:5], s[6:7], 0x0
	s_movk_i32 s2, 0x120
	v_cmp_gt_u32_e64 s[2:3], s2, v0
	s_waitcnt lgkmcnt(0)
	s_barrier
	s_and_saveexec_b64 s[6:7], s[2:3]
	s_cbranch_execz .LBB0_18
; %bb.17:
	v_mul_u32_u24_e32 v2, 0x48, v19
	v_add3_u32 v10, 0, v2, v20
	ds_read_b64 v[2:3], v10
	ds_read_b64 v[4:5], v10 offset:2304
	ds_read_b64 v[6:7], v10 offset:4608
	;; [unrolled: 1-line block ×6, first 2 shown]
.LBB0_18:
	s_or_b64 exec, exec, s[6:7]
	s_waitcnt lgkmcnt(0)
	s_barrier
	s_and_saveexec_b64 s[6:7], s[2:3]
	s_cbranch_execz .LBB0_20
; %bb.19:
	v_and_b32_e32 v16, 7, v19
	v_mul_u32_u24_e32 v17, 6, v16
	v_lshlrev_b32_e32 v17, 3, v17
	global_load_dwordx4 v[21:24], v17, s[28:29] offset:16
	global_load_dwordx4 v[25:28], v17, s[28:29]
	s_mov_b32 s5, 0x3eae86e6
	s_mov_b32 s3, 0xbf5ff5aa
	;; [unrolled: 1-line block ×4, first 2 shown]
	s_waitcnt vmcnt(1)
	v_mul_f32_e32 v29, v15, v22
	v_mul_f32_e32 v22, v14, v22
	v_fmac_f32_e32 v29, v14, v21
	v_fma_f32 v21, v15, v21, -v22
	v_mul_f32_e32 v22, v13, v24
	v_mul_f32_e32 v14, v12, v24
	v_fmac_f32_e32 v22, v12, v23
	v_fma_f32 v23, v13, v23, -v14
	global_load_dwordx4 v[12:15], v17, s[28:29] offset:32
	s_waitcnt vmcnt(0)
	v_mul_f32_e32 v17, v11, v15
	v_mul_f32_e32 v15, v10, v15
	;; [unrolled: 1-line block ×3, first 2 shown]
	v_fmac_f32_e32 v17, v10, v14
	v_fma_f32 v10, v11, v14, -v15
	v_mul_f32_e32 v11, v8, v13
	v_mul_f32_e32 v13, v5, v26
	v_fmac_f32_e32 v24, v8, v12
	v_fma_f32 v8, v9, v12, -v11
	v_mul_f32_e32 v9, v4, v26
	v_mul_f32_e32 v11, v7, v28
	;; [unrolled: 1-line block ×3, first 2 shown]
	v_fmac_f32_e32 v13, v4, v25
	v_fma_f32 v4, v5, v25, -v9
	v_fmac_f32_e32 v11, v6, v27
	v_fma_f32 v5, v7, v27, -v12
	v_add_f32_e32 v6, v4, v10
	v_add_f32_e32 v9, v5, v8
	;; [unrolled: 1-line block ×4, first 2 shown]
	v_sub_f32_e32 v13, v13, v17
	v_sub_f32_e32 v17, v22, v29
	;; [unrolled: 1-line block ×6, first 2 shown]
	v_add_f32_e32 v7, v21, v23
	v_add_f32_e32 v14, v29, v22
	;; [unrolled: 1-line block ×4, first 2 shown]
	v_sub_f32_e32 v25, v17, v11
	v_sub_f32_e32 v26, v4, v10
	;; [unrolled: 1-line block ×3, first 2 shown]
	v_add_f32_e32 v10, v10, v5
	v_sub_f32_e32 v22, v6, v7
	v_sub_f32_e32 v23, v7, v9
	;; [unrolled: 1-line block ×7, first 2 shown]
	v_add_f32_e32 v17, v17, v11
	v_sub_f32_e32 v11, v11, v13
	v_sub_f32_e32 v5, v5, v4
	v_add_f32_e32 v7, v7, v8
	v_add_f32_e32 v8, v14, v21
	;; [unrolled: 1-line block ×3, first 2 shown]
	v_mul_f32_e32 v4, 0x3f08b237, v25
	v_add_f32_e32 v13, v17, v13
	v_mul_f32_e32 v10, 0xbf5ff5aa, v11
	v_mul_f32_e32 v17, 0x3f4a47b2, v22
	;; [unrolled: 1-line block ×3, first 2 shown]
	v_add_f32_e32 v3, v3, v7
	v_mov_b32_e32 v27, v4
	v_mul_f32_e32 v21, 0x3d64c772, v23
	v_mul_f32_e32 v25, 0xbf5ff5aa, v5
	v_fma_f32 v10, v15, s5, -v10
	v_fmac_f32_e32 v27, 0xbeae86e6, v15
	v_mov_b32_e32 v15, v3
	v_add_f32_e32 v2, v2, v8
	v_fma_f32 v11, v11, s3, -v4
	v_fma_f32 v4, v6, s2, -v21
	;; [unrolled: 1-line block ×4, first 2 shown]
	v_mov_b32_e32 v25, v22
	v_fmac_f32_e32 v15, 0xbf955555, v7
	v_fmac_f32_e32 v17, 0x3d64c772, v23
	;; [unrolled: 1-line block ×3, first 2 shown]
	v_mov_b32_e32 v23, v2
	v_add_f32_e32 v26, v6, v15
	v_add_f32_e32 v6, v4, v15
	v_mul_f32_e32 v4, 0x3f4a47b2, v9
	v_fmac_f32_e32 v23, 0xbf955555, v8
	v_fma_f32 v8, v5, s3, -v22
	v_mov_b32_e32 v5, v4
	v_mul_f32_e32 v7, 0x3d64c772, v24
	v_fma_f32 v4, v12, s8, -v4
	v_fmac_f32_e32 v27, 0xbee1c552, v13
	v_fmac_f32_e32 v10, 0xbee1c552, v13
	;; [unrolled: 1-line block ×3, first 2 shown]
	v_add_f32_e32 v13, v4, v23
	v_fma_f32 v4, v12, s2, -v7
	v_add_f32_e32 v17, v17, v15
	v_fmac_f32_e32 v5, 0x3d64c772, v24
	v_add_f32_e32 v9, v4, v23
	v_fmac_f32_e32 v8, 0xbee1c552, v14
	v_fmac_f32_e32 v21, 0xbee1c552, v14
	v_add_f32_e32 v22, v5, v23
	v_sub_f32_e32 v5, v6, v11
	v_add_f32_e32 v4, v8, v9
	v_add_f32_e32 v7, v11, v6
	v_sub_f32_e32 v6, v9, v8
	v_add_f32_e32 v9, v10, v26
	v_sub_f32_e32 v8, v13, v21
	v_sub_f32_e32 v11, v26, v10
	v_add_f32_e32 v10, v21, v13
	v_add_f32_e32 v13, v27, v17
	v_sub_f32_e32 v15, v17, v27
	v_lshrrev_b32_e32 v17, 3, v19
	v_mul_u32_u24_e32 v17, 56, v17
	v_or_b32_e32 v16, v17, v16
	v_fmac_f32_e32 v25, 0xbee1c552, v14
	v_mul_u32_u24_e32 v16, 0x48, v16
	v_add_f32_e32 v14, v25, v22
	v_add3_u32 v16, 0, v16, v20
	ds_write2_b64 v16, v[2:3], v[14:15] offset1:72
	ds_write2_b64 v16, v[10:11], v[6:7] offset0:144 offset1:216
	v_add_u32_e32 v2, 0x800, v16
	v_sub_f32_e32 v12, v22, v25
	ds_write2_b64 v2, v[4:5], v[8:9] offset0:32 offset1:104
	ds_write_b64 v16, v[12:13] offset:3456
.LBB0_20:
	s_or_b64 exec, exec, s[6:7]
	s_mov_b32 s2, 0x4924925
	v_mul_hi_u32 v2, v19, s2
	s_waitcnt lgkmcnt(0)
	s_barrier
	v_mul_u32_u24_e32 v2, 56, v2
	v_sub_u32_e32 v2, v19, v2
	v_mul_u32_u24_e32 v3, 3, v2
	v_lshlrev_b32_e32 v9, 3, v3
	global_load_dwordx4 v[3:6], v9, s[28:29] offset:384
	global_load_dwordx2 v[7:8], v9, s[28:29] offset:400
	v_mul_u32_u24_e32 v9, 0x48, v19
	v_add3_u32 v15, 0, v9, v20
	v_mul_lo_u32 v17, v1, 56
	v_mul_lo_u32 v1, v2, v1
	ds_read_b64 v[9:10], v15 offset:8064
	ds_read_b64 v[11:12], v15 offset:12096
	;; [unrolled: 1-line block ×3, first 2 shown]
	ds_read_b64 v[15:16], v15
	s_add_i32 s2, 0, 0x3f00
	v_mul_hi_u32_u24_e32 v0, 0x820821, v0
	v_and_b32_e32 v19, 63, v1
	v_lshrrev_b32_e32 v20, 3, v1
	v_lshl_add_u32 v19, v19, 3, 0
	v_and_b32_e32 v20, 0x1f8, v20
	v_add_u32_e32 v20, s2, v20
	v_lshrrev_b32_e32 v21, 9, v1
	v_add_u32_e32 v1, v1, v17
	v_and_b32_e32 v21, 0x1f8, v21
	v_and_b32_e32 v22, 63, v1
	v_lshrrev_b32_e32 v23, 3, v1
	v_lshrrev_b32_e32 v24, 9, v1
	v_add_u32_e32 v21, s2, v21
	v_add_u32_e32 v1, v1, v17
	v_lshl_add_u32 v22, v22, 3, 0
	v_and_b32_e32 v23, 0x1f8, v23
	s_mul_i32 s3, s4, s30
	s_add_i32 s3, s3, s17
	s_or_b64 vcc, vcc, s[0:1]
	s_lshl_b32 s4, s3, 3
	s_mov_b32 s3, 0x20000
	s_mov_b32 s0, s22
	;; [unrolled: 1-line block ×3, first 2 shown]
	s_waitcnt vmcnt(1) lgkmcnt(1)
	v_mul_f32_e32 v25, v4, v14
	v_mul_f32_e32 v4, v4, v13
	;; [unrolled: 1-line block ×3, first 2 shown]
	v_fmac_f32_e32 v25, v3, v13
	v_fma_f32 v27, v3, v14, -v4
	v_mul_f32_e32 v3, v6, v9
	v_fmac_f32_e32 v26, v5, v9
	v_fma_f32 v28, v5, v10, -v3
	ds_read_b64 v[3:4], v19 offset:16128
	ds_read_b64 v[5:6], v20 offset:512
	v_and_b32_e32 v19, 0x1f8, v24
	ds_read_b64 v[9:10], v21 offset:1024
	ds_read_b64 v[13:14], v22 offset:16128
	v_and_b32_e32 v20, 63, v1
	s_waitcnt lgkmcnt(2)
	v_mul_f32_e32 v21, v4, v6
	v_mul_f32_e32 v24, v3, v6
	v_fma_f32 v29, v3, v5, -v21
	v_fmac_f32_e32 v24, v4, v5
	v_lshrrev_b32_e32 v3, 3, v1
	v_add_u32_e32 v4, s2, v23
	v_and_b32_e32 v6, 0x1f8, v3
	ds_read_b64 v[3:4], v4 offset:512
	v_add_u32_e32 v5, s2, v19
	v_lshl_add_u32 v19, v20, 3, 0
	v_add_u32_e32 v21, s2, v6
	ds_read_b64 v[5:6], v5 offset:1024
	ds_read_b64 v[19:20], v19 offset:16128
	;; [unrolled: 1-line block ×3, first 2 shown]
	s_waitcnt lgkmcnt(3)
	v_mul_f32_e32 v23, v14, v4
	v_fma_f32 v23, v13, v3, -v23
	v_mul_f32_e32 v13, v13, v4
	v_fmac_f32_e32 v13, v14, v3
	v_mul_f32_e32 v3, v24, v10
	v_fma_f32 v4, v9, v29, -v3
	s_waitcnt vmcnt(0)
	v_mul_f32_e32 v3, v8, v12
	v_mul_f32_e32 v8, v8, v11
	;; [unrolled: 1-line block ×3, first 2 shown]
	v_fmac_f32_e32 v3, v7, v11
	v_fma_f32 v7, v7, v12, -v8
	v_fmac_f32_e32 v10, v9, v24
	v_sub_f32_e32 v8, v15, v26
	v_sub_f32_e32 v9, v16, v28
	;; [unrolled: 1-line block ×4, first 2 shown]
	v_fma_f32 v11, v15, 2.0, -v8
	v_fma_f32 v12, v16, 2.0, -v9
	;; [unrolled: 1-line block ×4, first 2 shown]
	v_add_f32_e32 v16, v8, v7
	v_sub_f32_e32 v24, v9, v3
	v_sub_f32_e32 v25, v11, v14
	;; [unrolled: 1-line block ×3, first 2 shown]
	v_fma_f32 v7, v8, 2.0, -v16
	v_fma_f32 v8, v9, 2.0, -v24
	;; [unrolled: 1-line block ×4, first 2 shown]
	v_mul_f32_e32 v3, v11, v10
	v_mul_f32_e32 v10, v9, v10
	v_fmac_f32_e32 v3, v9, v4
	s_waitcnt lgkmcnt(2)
	v_mul_f32_e32 v9, v13, v6
	v_mul_f32_e32 v6, v23, v6
	v_fmac_f32_e32 v6, v5, v13
	v_fma_f32 v9, v5, v23, -v9
	v_mul_f32_e32 v5, v8, v6
	v_fmac_f32_e32 v5, v7, v9
	v_mul_f32_e32 v6, v7, v6
	s_waitcnt lgkmcnt(0)
	v_mul_f32_e32 v7, v20, v22
	v_fma_f32 v23, v19, v21, -v7
	v_lshrrev_b32_e32 v7, 9, v1
	v_add_u32_e32 v1, v1, v17
	v_fma_f32 v6, v8, v9, -v6
	v_and_b32_e32 v8, 63, v1
	v_and_b32_e32 v7, 0x1f8, v7
	v_lshl_add_u32 v9, v8, 3, 0
	v_lshrrev_b32_e32 v8, 3, v1
	v_add_u32_e32 v7, s2, v7
	v_and_b32_e32 v8, 0x1f8, v8
	v_fma_f32 v4, v11, v4, -v10
	v_add_u32_e32 v11, s2, v8
	ds_read_b64 v[7:8], v7 offset:1024
	v_lshrrev_b32_e32 v1, 9, v1
	v_mul_f32_e32 v19, v19, v22
	v_and_b32_e32 v1, 0x1f8, v1
	v_fmac_f32_e32 v19, v20, v21
	v_add_u32_e32 v1, s2, v1
	ds_read_b64 v[9:10], v9 offset:16128
	ds_read_b64 v[11:12], v11 offset:512
	;; [unrolled: 1-line block ×3, first 2 shown]
	s_waitcnt lgkmcnt(3)
	v_mul_f32_e32 v1, v19, v8
	v_mul_f32_e32 v8, v23, v8
	v_fmac_f32_e32 v8, v7, v19
	v_fma_f32 v1, v7, v23, -v1
	v_mul_f32_e32 v7, v15, v8
	v_mul_f32_e32 v8, v25, v8
	v_fmac_f32_e32 v7, v25, v1
	v_fma_f32 v8, v15, v1, -v8
	s_waitcnt lgkmcnt(1)
	v_mul_f32_e32 v1, v10, v12
	v_fma_f32 v1, v9, v11, -v1
	v_mul_f32_e32 v9, v9, v12
	s_movk_i32 s2, 0xe0
	v_fmac_f32_e32 v9, v10, v11
	s_waitcnt lgkmcnt(0)
	v_mul_f32_e32 v11, v1, v14
	v_mad_u32_u24 v0, v0, s2, v2
	v_mul_f32_e32 v10, v9, v14
	v_fmac_f32_e32 v11, v13, v9
	v_mul_lo_u32 v9, s18, v18
	v_mul_lo_u32 v12, s16, v0
	v_fma_f32 v10, v13, v1, -v10
	v_mul_f32_e32 v1, v24, v11
	v_mul_f32_e32 v2, v16, v11
	v_fmac_f32_e32 v1, v16, v10
	v_fma_f32 v2, v24, v10, -v2
	v_add_lshl_u32 v10, v9, v12, 3
	v_add_u32_e32 v11, 56, v0
	v_cndmask_b32_e32 v10, -1, v10, vcc
	s_mov_b32 s2, -2
	v_mul_lo_u32 v11, s16, v11
	buffer_store_dwordx2 v[3:4], v10, s[0:3], s4 offen
	v_add_u32_e32 v4, 0x70, v0
	v_add_u32_e32 v0, 0xa8, v0
	v_mul_lo_u32 v4, s16, v4
	v_mul_lo_u32 v0, s16, v0
	v_add_lshl_u32 v3, v9, v11, 3
	v_cndmask_b32_e32 v3, -1, v3, vcc
	buffer_store_dwordx2 v[5:6], v3, s[0:3], s4 offen
	v_add_lshl_u32 v3, v9, v4, 3
	v_add_lshl_u32 v0, v9, v0, 3
	v_cndmask_b32_e32 v3, -1, v3, vcc
	v_cndmask_b32_e32 v0, -1, v0, vcc
	buffer_store_dwordx2 v[7:8], v3, s[0:3], s4 offen
	buffer_store_dwordx2 v[1:2], v0, s[0:3], s4 offen
	s_endpgm
	.section	.rodata,"a",@progbits
	.p2align	6, 0x0
	.amdhsa_kernel fft_rtc_back_len224_factors_8_7_4_wgs_504_tpt_56_sp_op_CI_CI_sbcc_twdbase6_3step_dirReg_intrinsicReadWrite
		.amdhsa_group_segment_fixed_size 0
		.amdhsa_private_segment_fixed_size 0
		.amdhsa_kernarg_size 112
		.amdhsa_user_sgpr_count 6
		.amdhsa_user_sgpr_private_segment_buffer 1
		.amdhsa_user_sgpr_dispatch_ptr 0
		.amdhsa_user_sgpr_queue_ptr 0
		.amdhsa_user_sgpr_kernarg_segment_ptr 1
		.amdhsa_user_sgpr_dispatch_id 0
		.amdhsa_user_sgpr_flat_scratch_init 0
		.amdhsa_user_sgpr_private_segment_size 0
		.amdhsa_uses_dynamic_stack 0
		.amdhsa_system_sgpr_private_segment_wavefront_offset 0
		.amdhsa_system_sgpr_workgroup_id_x 1
		.amdhsa_system_sgpr_workgroup_id_y 0
		.amdhsa_system_sgpr_workgroup_id_z 0
		.amdhsa_system_sgpr_workgroup_info 0
		.amdhsa_system_vgpr_workitem_id 0
		.amdhsa_next_free_vgpr 30
		.amdhsa_next_free_sgpr 51
		.amdhsa_reserve_vcc 1
		.amdhsa_reserve_flat_scratch 0
		.amdhsa_float_round_mode_32 0
		.amdhsa_float_round_mode_16_64 0
		.amdhsa_float_denorm_mode_32 3
		.amdhsa_float_denorm_mode_16_64 3
		.amdhsa_dx10_clamp 1
		.amdhsa_ieee_mode 1
		.amdhsa_fp16_overflow 0
		.amdhsa_exception_fp_ieee_invalid_op 0
		.amdhsa_exception_fp_denorm_src 0
		.amdhsa_exception_fp_ieee_div_zero 0
		.amdhsa_exception_fp_ieee_overflow 0
		.amdhsa_exception_fp_ieee_underflow 0
		.amdhsa_exception_fp_ieee_inexact 0
		.amdhsa_exception_int_div_zero 0
	.end_amdhsa_kernel
	.text
.Lfunc_end0:
	.size	fft_rtc_back_len224_factors_8_7_4_wgs_504_tpt_56_sp_op_CI_CI_sbcc_twdbase6_3step_dirReg_intrinsicReadWrite, .Lfunc_end0-fft_rtc_back_len224_factors_8_7_4_wgs_504_tpt_56_sp_op_CI_CI_sbcc_twdbase6_3step_dirReg_intrinsicReadWrite
                                        ; -- End function
	.section	.AMDGPU.csdata,"",@progbits
; Kernel info:
; codeLenInByte = 4420
; NumSgprs: 55
; NumVgprs: 30
; ScratchSize: 0
; MemoryBound: 0
; FloatMode: 240
; IeeeMode: 1
; LDSByteSize: 0 bytes/workgroup (compile time only)
; SGPRBlocks: 6
; VGPRBlocks: 7
; NumSGPRsForWavesPerEU: 55
; NumVGPRsForWavesPerEU: 30
; Occupancy: 8
; WaveLimiterHint : 0
; COMPUTE_PGM_RSRC2:SCRATCH_EN: 0
; COMPUTE_PGM_RSRC2:USER_SGPR: 6
; COMPUTE_PGM_RSRC2:TRAP_HANDLER: 0
; COMPUTE_PGM_RSRC2:TGID_X_EN: 1
; COMPUTE_PGM_RSRC2:TGID_Y_EN: 0
; COMPUTE_PGM_RSRC2:TGID_Z_EN: 0
; COMPUTE_PGM_RSRC2:TIDIG_COMP_CNT: 0
	.type	__hip_cuid_3118e625e0882882,@object ; @__hip_cuid_3118e625e0882882
	.section	.bss,"aw",@nobits
	.globl	__hip_cuid_3118e625e0882882
__hip_cuid_3118e625e0882882:
	.byte	0                               ; 0x0
	.size	__hip_cuid_3118e625e0882882, 1

	.ident	"AMD clang version 19.0.0git (https://github.com/RadeonOpenCompute/llvm-project roc-6.4.0 25133 c7fe45cf4b819c5991fe208aaa96edf142730f1d)"
	.section	".note.GNU-stack","",@progbits
	.addrsig
	.addrsig_sym __hip_cuid_3118e625e0882882
	.amdgpu_metadata
---
amdhsa.kernels:
  - .args:
      - .actual_access:  read_only
        .address_space:  global
        .offset:         0
        .size:           8
        .value_kind:     global_buffer
      - .address_space:  global
        .offset:         8
        .size:           8
        .value_kind:     global_buffer
      - .offset:         16
        .size:           8
        .value_kind:     by_value
      - .actual_access:  read_only
        .address_space:  global
        .offset:         24
        .size:           8
        .value_kind:     global_buffer
      - .actual_access:  read_only
        .address_space:  global
        .offset:         32
        .size:           8
        .value_kind:     global_buffer
      - .actual_access:  read_only
        .address_space:  global
        .offset:         40
        .size:           8
        .value_kind:     global_buffer
      - .offset:         48
        .size:           8
        .value_kind:     by_value
      - .actual_access:  read_only
        .address_space:  global
        .offset:         56
        .size:           8
        .value_kind:     global_buffer
      - .actual_access:  read_only
        .address_space:  global
        .offset:         64
        .size:           8
        .value_kind:     global_buffer
      - .offset:         72
        .size:           4
        .value_kind:     by_value
      - .actual_access:  read_only
        .address_space:  global
        .offset:         80
        .size:           8
        .value_kind:     global_buffer
      - .actual_access:  read_only
        .address_space:  global
        .offset:         88
        .size:           8
        .value_kind:     global_buffer
      - .address_space:  global
        .offset:         96
        .size:           8
        .value_kind:     global_buffer
      - .address_space:  global
        .offset:         104
        .size:           8
        .value_kind:     global_buffer
    .group_segment_fixed_size: 0
    .kernarg_segment_align: 8
    .kernarg_segment_size: 112
    .language:       OpenCL C
    .language_version:
      - 2
      - 0
    .max_flat_workgroup_size: 504
    .name:           fft_rtc_back_len224_factors_8_7_4_wgs_504_tpt_56_sp_op_CI_CI_sbcc_twdbase6_3step_dirReg_intrinsicReadWrite
    .private_segment_fixed_size: 0
    .sgpr_count:     55
    .sgpr_spill_count: 0
    .symbol:         fft_rtc_back_len224_factors_8_7_4_wgs_504_tpt_56_sp_op_CI_CI_sbcc_twdbase6_3step_dirReg_intrinsicReadWrite.kd
    .uniform_work_group_size: 1
    .uses_dynamic_stack: false
    .vgpr_count:     30
    .vgpr_spill_count: 0
    .wavefront_size: 64
amdhsa.target:   amdgcn-amd-amdhsa--gfx906
amdhsa.version:
  - 1
  - 2
...

	.end_amdgpu_metadata
